;; amdgpu-corpus repo=llvm/llvm-project kind=harvested arch=n/a opt=n/a
// NOTE: Assertions have been autogenerated by utils/update_mc_test_checks.py UTC_ARGS: --unique --version 5
// RUN: not llvm-mc -triple=amdgcn -mcpu=gfx1200 -mattr=+wavefrontsize32 -filetype=null %s 2>&1 | FileCheck --check-prefix=GFX12 --strict-whitespace --implicit-check-not=error %s
// RUN: not llvm-mc -triple=amdgcn -mcpu=gfx1200 -mattr=+wavefrontsize64 -filetype=null %s 2>&1 | FileCheck --check-prefix=GFX12 --strict-whitespace --implicit-check-not=error %s

v_permlane16_b32 v5, v1, s2, s3 op_sel:[0, 0, 0, 1]
// GFX12: :[[@LINE-1]]:33: error: invalid op_sel operand

v_permlanex16_b32 v5, v1, s2, s3 op_sel:[0, 0, 1, 0]
// GFX12: :[[@LINE-1]]:34: error: invalid op_sel operand

v_permlane16_var_b32 v5, v1, v2 clamp
// GFX12: :[[@LINE-1]]:33: error: invalid operand for instruction

v_permlane16_var_b32 v5, v1, v2 div:2
// GFX12: :[[@LINE-1]]:33: error: not a valid operand.

v_permlane16_var_b32 v5, v1, v2 mul:1
// GFX12: :[[@LINE-1]]:33: error: not a valid operand.

v_permlane16_var_b32 -v5, v1, v2 op_sel:[0, 1]
// GFX12: :[[@LINE-1]]:22: error: not a valid operand.

v_permlane16_var_b32 v5, -v1, v2 op_sel:[0, 1]
// GFX12: :[[@LINE-1]]:26: error: not a valid operand.

v_permlane16_var_b32 v5, v1, -v2 op_sel:[0, 1]
// GFX12: :[[@LINE-1]]:30: error: not a valid operand.

v_permlane16_var_b32 -|v5|, v1, v2 op_sel:[0, 1]
// GFX12: :[[@LINE-1]]:22: error: not a valid operand.

v_permlane16_var_b32 v5, -v1, |v2| op_sel:[0, 1]
// GFX12: :[[@LINE-1]]:26: error: not a valid operand.

v_permlane16_var_b32 v5, v1, -|v2| op_sel:[0, 1]
// GFX12: :[[@LINE-1]]:30: error: not a valid operand.

v_permlane16_var_b32 |v5|, v1, v2 op_sel:[0, 1]
// GFX12: :[[@LINE-1]]:22: error: not a valid operand.

v_permlane16_var_b32 v5, |v1|, v2 op_sel:[0, 1]
// GFX12: :[[@LINE-1]]:26: error: not a valid operand.

v_permlane16_var_b32 v5, v1, |v2| op_sel:[0, 1]
// GFX12: :[[@LINE-1]]:30: error: not a valid operand.

v_permlane16_var_b32 v5, v1, v2 op_sel:[-1, 0]
// GFX12: :[[@LINE-1]]:41: error: invalid op_sel value.

v_permlane16_var_b32 v5, v1, v2 op_sel:[1, -1]
// GFX12: :[[@LINE-1]]:44: error: invalid op_sel value.

v_permlane16_var_b32 v5, v1, v2 op_sel:[0, 0, 0, 1]
// GFX12: :[[@LINE-1]]:33: error: invalid op_sel operand

v_permlane16_var_b32 v5, v1, v2 op_sel:[0, 0, 0, -1]
// GFX12: :[[@LINE-1]]:50: error: invalid op_sel value.

v_permlane16_var_b32 v5, v1, v2 op_sel:[0, 0, 1, 0]
// GFX12: :[[@LINE-1]]:33: error: invalid op_sel operand

v_permlane16_var_b32 v5, v1, v2 op_sel:[0, 0, -1, 0]
// GFX12: :[[@LINE-1]]:47: error: invalid op_sel value.

v_permlane16_var_b32 v5, v1, v2 op_sel:[0, 0, 1]
// GFX12: :[[@LINE-1]]:33: error: invalid op_sel operand

v_cvt_sr_bf8_f32 v1, v2, v3 byte_sel:4
// GFX12: :[[@LINE-1]]:29: error: invalid byte_sel value.

v_cvt_pk_fp8_f32 v1, v2, v3 clamp
// GFX12: :[[@LINE-1]]:29: error: invalid operand for instruction

v_cvt_sr_fp8_f32 v1, v2, v3 clamp
// GFX12: :[[@LINE-1]]:29: error: invalid operand for instruction
